;; amdgpu-corpus repo=ROCm/rocFFT kind=compiled arch=gfx950 opt=O3
	.text
	.amdgcn_target "amdgcn-amd-amdhsa--gfx950"
	.amdhsa_code_object_version 6
	.protected	fft_rtc_back_len60_factors_6_10_wgs_160_tpt_10_half_op_CI_CI_sbcc_twdbase8_2step ; -- Begin function fft_rtc_back_len60_factors_6_10_wgs_160_tpt_10_half_op_CI_CI_sbcc_twdbase8_2step
	.globl	fft_rtc_back_len60_factors_6_10_wgs_160_tpt_10_half_op_CI_CI_sbcc_twdbase8_2step
	.p2align	8
	.type	fft_rtc_back_len60_factors_6_10_wgs_160_tpt_10_half_op_CI_CI_sbcc_twdbase8_2step,@function
fft_rtc_back_len60_factors_6_10_wgs_160_tpt_10_half_op_CI_CI_sbcc_twdbase8_2step: ; @fft_rtc_back_len60_factors_6_10_wgs_160_tpt_10_half_op_CI_CI_sbcc_twdbase8_2step
; %bb.0:
	s_load_dwordx4 s[20:23], s[0:1], 0x18
	s_load_dwordx2 s[34:35], s[0:1], 0x28
	s_mov_b32 s3, 0
	s_mov_b64 s[24:25], 0
	s_waitcnt lgkmcnt(0)
	s_load_dwordx2 s[30:31], s[20:21], 0x8
	s_waitcnt lgkmcnt(0)
	s_add_u32 s4, s30, -1
	s_addc_u32 s5, s31, -1
	s_lshr_b64 s[4:5], s[4:5], 4
	s_add_u32 s36, s4, 1
	s_addc_u32 s37, s5, 0
	v_mov_b64_e32 v[2:3], s[36:37]
	v_cmp_lt_u64_e32 vcc, s[2:3], v[2:3]
	s_cbranch_vccnz .LBB0_2
; %bb.1:
	v_cvt_f32_u32_e32 v1, s36
	s_sub_i32 s4, 0, s36
	s_mov_b32 s25, s3
	v_rcp_iflag_f32_e32 v1, v1
	s_nop 0
	v_mul_f32_e32 v1, 0x4f7ffffe, v1
	v_cvt_u32_f32_e32 v1, v1
	s_nop 0
	v_readfirstlane_b32 s5, v1
	s_mul_i32 s4, s4, s5
	s_mul_hi_u32 s4, s5, s4
	s_add_i32 s5, s5, s4
	s_mul_hi_u32 s4, s2, s5
	s_mul_i32 s6, s4, s36
	s_sub_i32 s6, s2, s6
	s_add_i32 s5, s4, 1
	s_sub_i32 s7, s6, s36
	s_cmp_ge_u32 s6, s36
	s_cselect_b32 s4, s5, s4
	s_cselect_b32 s6, s7, s6
	s_add_i32 s5, s4, 1
	s_cmp_ge_u32 s6, s36
	s_cselect_b32 s24, s5, s4
.LBB0_2:
	s_load_dwordx4 s[8:11], s[0:1], 0x60
	s_load_dwordx4 s[16:19], s[22:23], 0x0
	;; [unrolled: 1-line block ×3, first 2 shown]
	s_load_dwordx2 s[26:27], s[0:1], 0x0
	s_load_dwordx4 s[12:15], s[0:1], 0x8
	s_mul_i32 s0, s24, s37
	s_mul_hi_u32 s1, s24, s36
	s_add_i32 s1, s1, s0
	s_mul_i32 s0, s24, s36
	s_sub_u32 s0, s2, s0
	s_subb_u32 s1, 0, s1
	v_mov_b32_e32 v1, s0
	s_lshl_b64 s[28:29], s[0:1], 4
	v_alignbit_b32 v1, s1, v1, 28
	s_waitcnt lgkmcnt(0)
	v_mul_lo_u32 v2, s18, v1
	s_mul_hi_u32 s0, s18, s28
	v_add_u32_e32 v2, s0, v2
	s_mul_i32 s0, s19, s28
	v_add_u32_e32 v5, s0, v2
	s_mul_i32 s0, s18, s28
	v_mov_b32_e32 v4, s0
	v_mul_lo_u32 v1, s6, v1
	s_mul_hi_u32 s0, s6, s28
	v_add_u32_e32 v1, s0, v1
	s_mul_i32 s0, s7, s28
	v_add_u32_e32 v3, s0, v1
	s_mul_i32 s0, s6, s28
	v_mov_b32_e32 v2, s0
	v_cmp_lt_u64_e64 s[0:1], s[14:15], 3
	s_and_b64 vcc, exec, s[0:1]
	s_cbranch_vccnz .LBB0_11
; %bb.3:
	s_add_u32 s38, s34, 16
	s_addc_u32 s39, s35, 0
	s_add_u32 s40, s22, 16
	s_addc_u32 s41, s23, 0
	s_add_u32 s20, s20, 16
	s_addc_u32 s21, s21, 0
	s_mov_b64 s[42:43], 2
	s_mov_b32 s44, 0
	v_mov_b64_e32 v[6:7], s[14:15]
	s_branch .LBB0_5
.LBB0_4:                                ;   in Loop: Header=BB0_5 Depth=1
	s_mul_i32 s33, s46, s37
	s_mul_hi_u32 s37, s46, s36
	s_add_i32 s33, s37, s33
	s_mul_i32 s37, s47, s36
	s_add_i32 s37, s33, s37
	s_mul_i32 s33, s0, s47
	s_mul_hi_u32 s45, s0, s46
	s_load_dwordx2 s[48:49], s[40:41], 0x0
	s_add_i32 s33, s45, s33
	s_mul_i32 s45, s1, s46
	s_add_i32 s33, s33, s45
	s_mul_i32 s45, s0, s46
	s_sub_u32 s45, s24, s45
	s_subb_u32 s33, s25, s33
	s_waitcnt lgkmcnt(0)
	s_mul_i32 s24, s48, s33
	s_mul_hi_u32 s25, s48, s45
	s_mul_i32 s36, s46, s36
	s_add_i32 s46, s25, s24
	s_load_dwordx2 s[24:25], s[38:39], 0x0
	s_mul_i32 s47, s49, s45
	s_add_i32 s47, s46, s47
	s_mul_i32 s46, s48, s45
	v_lshl_add_u64 v[4:5], s[46:47], 0, v[4:5]
	s_waitcnt lgkmcnt(0)
	s_mul_i32 s33, s24, s33
	s_mul_hi_u32 s46, s24, s45
	s_add_i32 s33, s46, s33
	s_mul_i32 s25, s25, s45
	s_add_i32 s25, s33, s25
	s_add_u32 s42, s42, 1
	s_addc_u32 s43, s43, 0
	s_add_u32 s38, s38, 8
	s_addc_u32 s39, s39, 0
	;; [unrolled: 2-line block ×3, first 2 shown]
	s_mul_i32 s24, s24, s45
	s_add_u32 s20, s20, 8
	v_cmp_ge_u64_e32 vcc, s[42:43], v[6:7]
	v_lshl_add_u64 v[2:3], s[24:25], 0, v[2:3]
	s_addc_u32 s21, s21, 0
	s_mov_b64 s[24:25], s[0:1]
	s_cbranch_vccnz .LBB0_9
.LBB0_5:                                ; =>This Inner Loop Header: Depth=1
	s_load_dwordx2 s[46:47], s[20:21], 0x0
	s_waitcnt lgkmcnt(0)
	s_or_b64 s[0:1], s[24:25], s[46:47]
	s_mov_b32 s45, s1
	s_cmp_lg_u64 s[44:45], 0
	s_cbranch_scc0 .LBB0_7
; %bb.6:                                ;   in Loop: Header=BB0_5 Depth=1
	v_cvt_f32_u32_e32 v1, s46
	v_cvt_f32_u32_e32 v8, s47
	s_sub_u32 s0, 0, s46
	s_subb_u32 s1, 0, s47
	v_fmac_f32_e32 v1, 0x4f800000, v8
	v_rcp_f32_e32 v1, v1
	s_nop 0
	v_mul_f32_e32 v1, 0x5f7ffffc, v1
	v_mul_f32_e32 v8, 0x2f800000, v1
	v_trunc_f32_e32 v8, v8
	v_fmac_f32_e32 v1, 0xcf800000, v8
	v_cvt_u32_f32_e32 v8, v8
	v_cvt_u32_f32_e32 v1, v1
	v_readfirstlane_b32 s33, v8
	v_readfirstlane_b32 s45, v1
	s_mul_i32 s48, s0, s33
	s_mul_hi_u32 s50, s0, s45
	s_mul_i32 s49, s1, s45
	s_add_i32 s48, s50, s48
	s_mul_i32 s51, s0, s45
	s_add_i32 s48, s48, s49
	s_mul_hi_u32 s49, s45, s48
	s_mul_i32 s50, s45, s48
	s_mul_hi_u32 s45, s45, s51
	s_add_u32 s45, s45, s50
	s_addc_u32 s49, 0, s49
	s_mul_hi_u32 s52, s33, s51
	s_mul_i32 s51, s33, s51
	s_add_u32 s45, s45, s51
	s_mul_hi_u32 s50, s33, s48
	s_addc_u32 s45, s49, s52
	s_addc_u32 s49, s50, 0
	s_mul_i32 s48, s33, s48
	s_add_u32 s45, s45, s48
	s_addc_u32 s48, 0, s49
	v_add_co_u32_e32 v1, vcc, s45, v1
	s_cmp_lg_u64 vcc, 0
	s_addc_u32 s33, s33, s48
	v_readfirstlane_b32 s48, v1
	s_mul_i32 s45, s0, s33
	s_mul_hi_u32 s49, s0, s48
	s_add_i32 s45, s49, s45
	s_mul_i32 s1, s1, s48
	s_add_i32 s45, s45, s1
	s_mul_i32 s0, s0, s48
	s_mul_hi_u32 s49, s33, s0
	s_mul_i32 s50, s33, s0
	s_mul_i32 s52, s48, s45
	s_mul_hi_u32 s0, s48, s0
	s_mul_hi_u32 s51, s48, s45
	s_add_u32 s0, s0, s52
	s_addc_u32 s48, 0, s51
	s_add_u32 s0, s0, s50
	s_mul_hi_u32 s1, s33, s45
	s_addc_u32 s0, s48, s49
	s_addc_u32 s1, s1, 0
	s_mul_i32 s45, s33, s45
	s_add_u32 s0, s0, s45
	s_addc_u32 s1, 0, s1
	v_add_co_u32_e32 v1, vcc, s0, v1
	s_cmp_lg_u64 vcc, 0
	s_addc_u32 s0, s33, s1
	v_readfirstlane_b32 s45, v1
	s_mul_i32 s33, s24, s0
	s_mul_hi_u32 s48, s24, s45
	s_mul_hi_u32 s1, s24, s0
	s_add_u32 s33, s48, s33
	s_addc_u32 s1, 0, s1
	s_mul_hi_u32 s49, s25, s45
	s_mul_i32 s45, s25, s45
	s_add_u32 s33, s33, s45
	s_mul_hi_u32 s48, s25, s0
	s_addc_u32 s1, s1, s49
	s_addc_u32 s33, s48, 0
	s_mul_i32 s0, s25, s0
	s_add_u32 s45, s1, s0
	s_addc_u32 s33, 0, s33
	s_mul_i32 s0, s46, s33
	s_mul_hi_u32 s1, s46, s45
	s_add_i32 s0, s1, s0
	s_mul_i32 s1, s47, s45
	s_add_i32 s48, s0, s1
	s_mul_i32 s1, s46, s45
	v_mov_b32_e32 v1, s1
	s_sub_i32 s0, s25, s48
	v_sub_co_u32_e32 v1, vcc, s24, v1
	s_cmp_lg_u64 vcc, 0
	s_subb_u32 s49, s0, s47
	v_subrev_co_u32_e64 v8, s[0:1], s46, v1
	s_cmp_lg_u64 s[0:1], 0
	s_subb_u32 s0, s49, 0
	s_cmp_ge_u32 s0, s47
	v_readfirstlane_b32 s49, v8
	s_cselect_b32 s1, -1, 0
	s_cmp_ge_u32 s49, s46
	s_cselect_b32 s49, -1, 0
	s_cmp_eq_u32 s0, s47
	s_cselect_b32 s0, s49, s1
	s_add_u32 s1, s45, 1
	s_addc_u32 s49, s33, 0
	s_add_u32 s50, s45, 2
	s_addc_u32 s51, s33, 0
	s_cmp_lg_u32 s0, 0
	s_cselect_b32 s0, s50, s1
	s_cselect_b32 s1, s51, s49
	s_cmp_lg_u64 vcc, 0
	s_subb_u32 s48, s25, s48
	s_cmp_ge_u32 s48, s47
	v_readfirstlane_b32 s50, v1
	s_cselect_b32 s49, -1, 0
	s_cmp_ge_u32 s50, s46
	s_cselect_b32 s50, -1, 0
	s_cmp_eq_u32 s48, s47
	s_cselect_b32 s48, s50, s49
	s_cmp_lg_u32 s48, 0
	s_cselect_b32 s1, s1, s33
	s_cselect_b32 s0, s0, s45
	s_cbranch_execnz .LBB0_4
	s_branch .LBB0_8
.LBB0_7:                                ;   in Loop: Header=BB0_5 Depth=1
                                        ; implicit-def: $sgpr0_sgpr1
.LBB0_8:                                ;   in Loop: Header=BB0_5 Depth=1
	v_cvt_f32_u32_e32 v1, s46
	s_sub_i32 s0, 0, s46
	v_rcp_iflag_f32_e32 v1, v1
	s_nop 0
	v_mul_f32_e32 v1, 0x4f7ffffe, v1
	v_cvt_u32_f32_e32 v1, v1
	s_nop 0
	v_readfirstlane_b32 s1, v1
	s_mul_i32 s0, s0, s1
	s_mul_hi_u32 s0, s1, s0
	s_add_i32 s1, s1, s0
	s_mul_hi_u32 s0, s24, s1
	s_mul_i32 s33, s0, s46
	s_sub_i32 s33, s24, s33
	s_add_i32 s1, s0, 1
	s_sub_i32 s45, s33, s46
	s_cmp_ge_u32 s33, s46
	s_cselect_b32 s0, s1, s0
	s_cselect_b32 s33, s45, s33
	s_add_i32 s1, s0, 1
	s_cmp_ge_u32 s33, s46
	s_cselect_b32 s0, s1, s0
	s_mov_b32 s1, s44
	s_branch .LBB0_4
.LBB0_9:
	v_mov_b64_e32 v[6:7], s[36:37]
	v_cmp_lt_u64_e32 vcc, s[2:3], v[6:7]
	s_mov_b64 s[24:25], 0
	s_cbranch_vccnz .LBB0_11
; %bb.10:
	v_cvt_f32_u32_e32 v1, s36
	s_sub_i32 s0, 0, s36
	v_rcp_iflag_f32_e32 v1, v1
	s_nop 0
	v_mul_f32_e32 v1, 0x4f7ffffe, v1
	v_cvt_u32_f32_e32 v1, v1
	s_nop 0
	v_readfirstlane_b32 s1, v1
	s_mul_i32 s0, s0, s1
	s_mul_hi_u32 s0, s1, s0
	s_add_i32 s1, s1, s0
	s_mul_hi_u32 s0, s2, s1
	s_mul_i32 s3, s0, s36
	s_sub_i32 s2, s2, s3
	s_add_i32 s1, s0, 1
	s_sub_i32 s3, s2, s36
	s_cmp_ge_u32 s2, s36
	s_cselect_b32 s0, s1, s0
	s_cselect_b32 s2, s3, s2
	s_add_i32 s1, s0, 1
	s_cmp_ge_u32 s2, s36
	s_cselect_b32 s24, s1, s0
.LBB0_11:
	s_lshl_b64 s[20:21], s[14:15], 3
	s_add_u32 s2, s34, s20
	s_addc_u32 s3, s35, s21
	s_add_u32 s0, s28, 16
	s_addc_u32 s1, s29, 0
	v_mov_b64_e32 v[6:7], s[30:31]
	v_and_b32_e32 v15, 15, v0
	v_cmp_le_u64_e32 vcc, s[0:1], v[6:7]
	v_or_b32_e32 v6, s28, v15
	v_mov_b32_e32 v7, s29
	v_lshrrev_b32_e32 v16, 4, v0
	v_cmp_gt_u64_e64 s[0:1], s[30:31], v[6:7]
	s_or_b64 s[0:1], vcc, s[0:1]
	v_lshlrev_b32_e32 v17, 2, v16
	v_add_u32_e32 v14, 10, v16
	v_add_u32_e32 v13, 20, v16
	;; [unrolled: 1-line block ×5, first 2 shown]
	s_and_saveexec_b64 s[14:15], s[0:1]
	s_cbranch_execz .LBB0_13
; %bb.12:
	s_add_u32 s20, s22, s20
	s_addc_u32 s21, s23, s21
	s_load_dwordx2 s[20:21], s[20:21], 0x0
	v_mad_u64_u32 v[6:7], s[22:23], s18, v15, 0
	v_mov_b32_e32 v8, v7
	v_lshlrev_b64 v[4:5], 2, v[4:5]
	s_waitcnt lgkmcnt(0)
	s_mul_i32 s18, s21, s24
	s_mul_hi_u32 s21, s20, s24
	s_add_i32 s21, s21, s18
	v_mad_u64_u32 v[8:9], s[18:19], s19, v15, v[8:9]
	v_mov_b32_e32 v7, v8
	v_mad_u64_u32 v[8:9], s[18:19], s16, v16, 0
	v_mov_b32_e32 v18, v9
	s_mul_i32 s20, s20, s24
	v_mad_u64_u32 v[18:19], s[18:19], s17, v16, v[18:19]
	s_lshl_b64 s[18:19], s[20:21], 2
	s_add_u32 s8, s8, s18
	s_addc_u32 s9, s9, s19
	v_lshl_add_u64 v[4:5], s[8:9], 0, v[4:5]
	v_mov_b32_e32 v9, v18
	v_lshl_add_u64 v[4:5], v[6:7], 2, v[4:5]
	v_lshl_add_u64 v[6:7], v[8:9], 2, v[4:5]
	v_mad_u64_u32 v[8:9], s[8:9], s16, v14, 0
	v_mov_b32_e32 v18, v9
	v_mad_u64_u32 v[18:19], s[8:9], s17, v14, v[18:19]
	v_mov_b32_e32 v9, v18
	;; [unrolled: 2-line block ×10, first 2 shown]
	v_lshl_add_u64 v[8:9], v[8:9], 2, v[4:5]
	v_lshl_add_u64 v[18:19], v[18:19], 2, v[4:5]
	;; [unrolled: 1-line block ×5, first 2 shown]
	global_load_dword v1, v[6:7], off
	global_load_dword v24, v[8:9], off
	;; [unrolled: 1-line block ×6, first 2 shown]
	v_mul_u32_u24_e32 v4, 0xf0, v15
	v_add3_u32 v4, 0, v4, v17
	s_waitcnt vmcnt(4)
	ds_write2_b32 v4, v1, v24 offset1:10
	s_waitcnt vmcnt(2)
	ds_write2_b32 v4, v25, v26 offset0:20 offset1:30
	s_waitcnt vmcnt(0)
	ds_write2_b32 v4, v27, v28 offset0:40 offset1:50
.LBB0_13:
	s_or_b64 exec, exec, s[14:15]
	s_mov_b32 s8, 0xcccd
	v_mul_u32_u24_sdwa v1, v0, s8 dst_sel:DWORD dst_unused:UNUSED_PAD src0_sel:WORD_0 src1_sel:DWORD
	v_lshrrev_b32_e32 v22, 19, v1
	v_and_b32_e32 v1, 15, v22
	v_mul_lo_u16_e32 v4, 10, v22
	v_mul_lo_u16_e32 v1, 60, v1
	v_sub_u16_e32 v21, v0, v4
	v_lshlrev_b32_e32 v0, 2, v1
	v_lshlrev_b32_e32 v1, 2, v21
	v_add3_u32 v18, 0, v1, v0
	s_load_dwordx2 s[2:3], s[2:3], 0x0
	s_waitcnt lgkmcnt(0)
	s_barrier
	v_add3_u32 v19, 0, v0, v1
	ds_read2_b32 v[0:1], v18 offset0:10 offset1:20
	ds_read_b32 v6, v19
	ds_read2_b32 v[4:5], v18 offset0:30 offset1:40
	ds_read_b32 v7, v18 offset:200
	s_mov_b32 s8, 0xbaee
	s_movk_i32 s9, 0x3aee
	s_waitcnt lgkmcnt(2)
	v_pk_add_f16 v8, v6, v1
	s_mov_b32 s14, 0xffff
	s_waitcnt lgkmcnt(0)
	v_add_f16_e32 v9, v4, v7
	v_fma_f16 v9, v9, -0.5, v0
	v_sub_f16_sdwa v20, v4, v7 dst_sel:DWORD dst_unused:UNUSED_PAD src0_sel:WORD_1 src1_sel:WORD_1
	v_fma_f16 v23, v20, s8, v9
	v_fma_f16 v9, v20, s9, v9
	v_pk_add_f16 v20, v0, v4
	v_lshrrev_b32_e32 v0, 16, v0
	v_pk_add_f16 v24, v20, v7
	v_add_f16_sdwa v20, v4, v7 dst_sel:DWORD dst_unused:UNUSED_PAD src0_sel:WORD_1 src1_sel:WORD_1
	v_fma_f16 v0, v20, -0.5, v0
	v_sub_f16_e32 v4, v4, v7
	v_fma_f16 v7, v4, s9, v0
	v_fma_f16 v0, v4, s8, v0
	v_mul_f16_e32 v4, 0xbaee, v7
	v_mul_f16_e32 v7, 0.5, v7
	v_fma_f16 v4, v23, 0.5, v4
	v_fma_f16 v7, v23, s9, v7
	v_pk_add_f16 v23, v1, v5
	v_pk_add_f16 v1, v1, v5 neg_lo:[0,1] neg_hi:[0,1]
	v_pk_fma_f16 v6, v23, -0.5, v6 op_sel_hi:[1,0,1]
	v_pk_mul_f16 v1, v1, s9 op_sel_hi:[1,0]
	s_mov_b32 s9, 0xb800baee
	v_pk_add_f16 v8, v8, v5
	v_pk_add_f16 v23, v6, v1 op_sel:[0,1] op_sel_hi:[1,0] neg_lo:[0,1] neg_hi:[0,1]
	s_mov_b32 s8, 0x3aeeb800
	v_pk_mul_f16 v0, v0, s9 op_sel_hi:[0,1]
	v_pk_add_f16 v1, v1, v6 op_sel:[1,0] op_sel_hi:[0,1]
	v_add_f16_e32 v25, v23, v4
	v_pk_fma_f16 v9, v9, s8, v0 op_sel_hi:[0,1,1]
	v_alignbit_b32 v0, v23, v8, 16
	v_alignbit_b32 v4, v4, v24, 16
	v_bfi_b32 v6, s14, v1, v23
	v_pk_add_f16 v0, v0, v4 neg_lo:[0,1] neg_hi:[0,1]
	v_pack_b32_f16 v4, v7, v9
	v_add_f16_sdwa v34, v1, v7 dst_sel:DWORD dst_unused:UNUSED_PAD src0_sel:WORD_1 src1_sel:DWORD
	v_pk_add_f16 v1, v1, v4 op_sel:[1,0] op_sel_hi:[0,1] neg_lo:[0,1] neg_hi:[0,1]
	v_pk_add_f16 v4, v6, v9 neg_lo:[0,1] neg_hi:[0,1]
	v_pk_add_f16 v20, v8, v24
	v_pk_add_f16 v5, v6, v9
	v_pk_add_f16 v35, v8, v24 neg_lo:[0,1] neg_hi:[0,1]
	v_mad_u32_u24 v7, v21, 20, v18
	v_pack_b32_f16 v8, v25, v34
	v_cmp_gt_u16_e32 vcc, 6, v21
	v_bfi_b32 v38, s14, v25, v4
	v_lshrrev_b32_e32 v6, 16, v4
	s_barrier
	ds_write2_b32 v7, v20, v8 offset1:1
	ds_write_b32 v7, v5 offset:8
	ds_write_b16 v7, v35 offset:12
	ds_write_b64 v7, v[0:1] offset:14
	ds_write_b16 v7, v6 offset:22
	s_waitcnt lgkmcnt(0)
	s_barrier
	s_waitcnt lgkmcnt(0)
                                        ; implicit-def: $vgpr36
                                        ; implicit-def: $vgpr37
                                        ; implicit-def: $vgpr39
                                        ; implicit-def: $vgpr7
                                        ; implicit-def: $vgpr9
                                        ; implicit-def: $vgpr40
	s_and_saveexec_b64 s[8:9], vcc
	s_cbranch_execz .LBB0_15
; %bb.14:
	ds_read2_b32 v[6:7], v18 offset0:42 offset1:48
	ds_read_b32 v20, v19
	ds_read_b32 v37, v18 offset:216
	ds_read2_b32 v[4:5], v18 offset0:6 offset1:12
	ds_read2_b32 v[24:25], v18 offset0:18 offset1:24
	;; [unrolled: 1-line block ×3, first 2 shown]
	s_waitcnt lgkmcnt(5)
	v_lshrrev_b32_e32 v39, 16, v7
	s_waitcnt lgkmcnt(3)
	v_lshrrev_b32_e32 v36, 16, v37
	;; [unrolled: 2-line block ×3, first 2 shown]
	s_waitcnt lgkmcnt(1)
	v_alignbit_b32 v0, v25, v24, 16
	s_waitcnt lgkmcnt(0)
	v_alignbit_b32 v1, v8, v25, 16
	v_bfi_b32 v38, s14, v4, v8
	v_bfi_b32 v40, s14, v6, v9
	;; [unrolled: 1-line block ×3, first 2 shown]
.LBB0_15:
	s_or_b64 exec, exec, s[8:9]
	v_add_u32_e32 v4, -6, v21
	v_add_u32_sdwa v41, s28, v22 dst_sel:DWORD dst_unused:UNUSED_PAD src0_sel:DWORD src1_sel:WORD_0
	v_cndmask_b32_e32 v45, v4, v21, vcc
	v_mul_lo_u32 v4, v41, v45
	v_mov_b32_e32 v42, 2
	v_lshlrev_b32_sdwa v26, v42, v4 dst_sel:DWORD dst_unused:UNUSED_PAD src0_sel:DWORD src1_sel:BYTE_0
	v_lshlrev_b32_sdwa v27, v42, v4 dst_sel:DWORD dst_unused:UNUSED_PAD src0_sel:DWORD src1_sel:BYTE_1
	v_add_u32_e32 v4, 6, v45
	v_mul_lo_u32 v4, v41, v4
	v_lshlrev_b32_sdwa v28, v42, v4 dst_sel:DWORD dst_unused:UNUSED_PAD src0_sel:DWORD src1_sel:BYTE_0
	v_lshlrev_b32_sdwa v29, v42, v4 dst_sel:DWORD dst_unused:UNUSED_PAD src0_sel:DWORD src1_sel:BYTE_1
	v_add_u32_e32 v4, 12, v45
	v_mul_lo_u32 v4, v41, v4
	;; [unrolled: 4-line block ×3, first 2 shown]
	v_lshlrev_b32_sdwa v32, v42, v4 dst_sel:DWORD dst_unused:UNUSED_PAD src0_sel:DWORD src1_sel:BYTE_0
	v_lshlrev_b32_sdwa v33, v42, v4 dst_sel:DWORD dst_unused:UNUSED_PAD src0_sel:DWORD src1_sel:BYTE_1
	global_load_dword v4, v26, s[12:13]
	global_load_dword v6, v27, s[12:13] offset:1024
	global_load_dword v8, v28, s[12:13]
	global_load_dword v21, v29, s[12:13] offset:1024
	global_load_dword v22, v30, s[12:13]
	global_load_dword v23, v31, s[12:13] offset:1024
	global_load_dword v24, v32, s[12:13]
	global_load_dword v25, v33, s[12:13] offset:1024
	v_or_b32_e32 v26, 24, v45
	v_mul_lo_u32 v26, v41, v26
	v_lshlrev_b32_sdwa v43, v42, v26 dst_sel:DWORD dst_unused:UNUSED_PAD src0_sel:DWORD src1_sel:BYTE_0
	v_lshlrev_b32_sdwa v44, v42, v26 dst_sel:DWORD dst_unused:UNUSED_PAD src0_sel:DWORD src1_sel:BYTE_1
	v_add_u32_e32 v26, 30, v45
	v_mul_lo_u32 v26, v41, v26
	v_lshlrev_b32_sdwa v46, v42, v26 dst_sel:DWORD dst_unused:UNUSED_PAD src0_sel:DWORD src1_sel:BYTE_0
	v_lshlrev_b32_sdwa v47, v42, v26 dst_sel:DWORD dst_unused:UNUSED_PAD src0_sel:DWORD src1_sel:BYTE_1
	v_add_u32_e32 v26, 36, v45
	;; [unrolled: 4-line block ×3, first 2 shown]
	v_mul_lo_u32 v26, v41, v26
	v_lshlrev_b32_sdwa v50, v42, v26 dst_sel:DWORD dst_unused:UNUSED_PAD src0_sel:DWORD src1_sel:BYTE_0
	v_lshlrev_b32_sdwa v51, v42, v26 dst_sel:DWORD dst_unused:UNUSED_PAD src0_sel:DWORD src1_sel:BYTE_1
	global_load_dword v26, v43, s[12:13]
	global_load_dword v27, v44, s[12:13] offset:1024
	global_load_dword v28, v46, s[12:13]
	global_load_dword v29, v47, s[12:13] offset:1024
	;; [unrolled: 2-line block ×4, first 2 shown]
	v_or_b32_e32 v43, 48, v45
	v_mul_lo_u32 v43, v41, v43
	v_lshlrev_b32_sdwa v46, v42, v43 dst_sel:DWORD dst_unused:UNUSED_PAD src0_sel:DWORD src1_sel:BYTE_0
	v_lshlrev_b32_sdwa v47, v42, v43 dst_sel:DWORD dst_unused:UNUSED_PAD src0_sel:DWORD src1_sel:BYTE_1
	v_add_u32_e32 v43, 54, v45
	v_mul_lo_u32 v41, v41, v43
	v_lshlrev_b32_sdwa v48, v42, v41 dst_sel:DWORD dst_unused:UNUSED_PAD src0_sel:DWORD src1_sel:BYTE_0
	v_lshlrev_b32_sdwa v49, v42, v41 dst_sel:DWORD dst_unused:UNUSED_PAD src0_sel:DWORD src1_sel:BYTE_1
	global_load_dword v41, v46, s[12:13]
	global_load_dword v42, v47, s[12:13] offset:1024
	global_load_dword v44, v48, s[12:13]
	global_load_dword v43, v49, s[12:13] offset:1024
	s_barrier
	s_and_saveexec_b64 s[8:9], vcc
	s_cbranch_execz .LBB0_17
; %bb.16:
	v_mul_i32_i24_e32 v46, 9, v45
	v_mov_b32_e32 v47, 0
	v_lshl_add_u64 v[54:55], v[46:47], 2, s[26:27]
	global_load_dwordx4 v[46:49], v[54:55], off
	global_load_dwordx4 v[50:53], v[54:55], off offset:16
	global_load_dword v45, v[54:55], off offset:32
	s_waitcnt vmcnt(4)
	v_lshrrev_b32_e32 v54, 16, v44
	v_lshrrev_b32_e32 v55, 16, v5
	;; [unrolled: 1-line block ×7, first 2 shown]
	s_waitcnt vmcnt(3)
	v_mul_f16_sdwa v63, v54, v43 dst_sel:DWORD dst_unused:UNUSED_PAD src0_sel:DWORD src1_sel:WORD_1
	v_mul_f16_sdwa v62, v44, v43 dst_sel:DWORD dst_unused:UNUSED_PAD src0_sel:DWORD src1_sel:WORD_1
	v_fma_f16 v44, v44, v43, -v63
	v_lshrrev_b32_e32 v58, 16, v20
	s_mov_b32 s12, 0xbb9c
	s_mov_b32 s14, 0xb8b4
	s_movk_i32 s15, 0x3b9c
	s_movk_i32 s13, 0x34f2
	;; [unrolled: 1-line block ×3, first 2 shown]
	v_fma_f16 v43, v54, v43, v62
	s_mov_b32 s17, 0xba79
	s_waitcnt vmcnt(2)
	v_mul_f16_sdwa v63, v5, v47 dst_sel:DWORD dst_unused:UNUSED_PAD src0_sel:DWORD src1_sel:WORD_1
	v_mul_f16_sdwa v64, v56, v49 dst_sel:DWORD dst_unused:UNUSED_PAD src0_sel:DWORD src1_sel:WORD_1
	s_waitcnt vmcnt(1)
	v_mul_f16_sdwa v65, v7, v53 dst_sel:DWORD dst_unused:UNUSED_PAD src0_sel:DWORD src1_sel:WORD_1
	v_mul_f16_sdwa v66, v55, v47 dst_sel:DWORD dst_unused:UNUSED_PAD src0_sel:DWORD src1_sel:WORD_1
	;; [unrolled: 1-line block ×6, first 2 shown]
	s_waitcnt vmcnt(0)
	v_mul_f16_sdwa v73, v36, v45 dst_sel:DWORD dst_unused:UNUSED_PAD src0_sel:DWORD src1_sel:WORD_1
	v_mul_f16_sdwa v74, v61, v52 dst_sel:DWORD dst_unused:UNUSED_PAD src0_sel:DWORD src1_sel:WORD_1
	;; [unrolled: 1-line block ×10, first 2 shown]
	v_fma_f16 v5, v5, v47, v66
	v_fma_f16 v9, v9, v51, v70
	v_fma_f16 v47, v55, v47, -v63
	v_fma_f16 v39, v39, v53, -v65
	;; [unrolled: 1-line block ×3, first 2 shown]
	v_fma_f16 v35, v35, v48, v71
	v_fma_f16 v55, v59, v50, v72
	;; [unrolled: 1-line block ×4, first 2 shown]
	v_fma_f16 v1, v1, v49, -v64
	v_fma_f16 v0, v0, v48, -v76
	;; [unrolled: 1-line block ×5, first 2 shown]
	v_fma_f16 v7, v7, v53, v68
	v_fma_f16 v53, v56, v49, v69
	;; [unrolled: 1-line block ×3, first 2 shown]
	v_fma_f16 v34, v34, v46, -v80
	v_sub_f16_e32 v46, v47, v1
	v_sub_f16_e32 v49, v39, v51
	v_add_f16_e32 v50, v1, v51
	v_sub_f16_e32 v57, v35, v55
	v_sub_f16_e32 v59, v37, v40
	v_add_f16_e32 v60, v55, v40
	v_add_f16_e32 v66, v45, v48
	v_sub_f16_e32 v67, v35, v37
	v_add_f16_e32 v46, v46, v49
	v_fma_f16 v49, v50, -0.5, v58
	v_add_f16_e32 v50, v57, v59
	v_fma_f16 v57, v60, -0.5, v38
	v_fma_f16 v60, v66, -0.5, v34
	v_sub_f16_e32 v61, v0, v36
	v_sub_f16_e32 v64, v0, v45
	;; [unrolled: 1-line block ×4, first 2 shown]
	v_fma_f16 v66, v67, s12, v60
	v_sub_f16_e32 v63, v45, v48
	v_add_f16_e32 v59, v64, v65
	v_fma_f16 v65, v61, s15, v57
	v_fma_f16 v66, v68, s14, v66
	;; [unrolled: 1-line block ×4, first 2 shown]
	v_sub_f16_e32 v54, v5, v53
	v_sub_f16_e32 v62, v7, v9
	v_fma_f16 v65, v50, s13, v65
	v_mul_f16_e32 v69, 0xba79, v66
	v_add_f16_e32 v54, v54, v62
	v_add_f16_e32 v62, v53, v9
	v_mul_f16_e32 v66, 0xb8b4, v66
	v_sub_f16_e32 v52, v5, v7
	v_fma_f16 v69, v65, s16, v69
	v_fma_f16 v62, v62, -0.5, v20
	v_fma_f16 v65, v65, s17, v66
	v_sub_f16_e32 v66, v47, v39
	v_sub_f16_e32 v56, v53, v9
	v_fma_f16 v64, v52, s12, v49
	v_fma_f16 v70, v66, s15, v62
	v_sub_f16_e32 v71, v1, v51
	v_fma_f16 v64, v56, s14, v64
	v_fma_f16 v70, v71, s16, v70
	;; [unrolled: 1-line block ×4, first 2 shown]
	v_sub_f16_e32 v72, v64, v69
	v_sub_f16_e32 v73, v70, v65
	v_mul_f16_e32 v74, v73, v43
	v_mul_f16_e32 v43, v72, v43
	v_fma_f16 v74, v72, v44, -v74
	v_fma_f16 v43, v73, v44, v43
	v_lshrrev_b32_e32 v44, 16, v41
	v_mul_f16_sdwa v72, v44, v42 dst_sel:DWORD dst_unused:UNUSED_PAD src0_sel:DWORD src1_sel:WORD_1
	v_fma_f16 v72, v41, v42, -v72
	v_mul_f16_sdwa v41, v41, v42 dst_sel:DWORD dst_unused:UNUSED_PAD src0_sel:DWORD src1_sel:WORD_1
	v_fma_f16 v41, v44, v42, v41
	v_sub_f16_e32 v42, v1, v47
	v_sub_f16_e32 v44, v51, v39
	v_add_f16_e32 v42, v42, v44
	v_sub_f16_e32 v44, v55, v35
	v_sub_f16_e32 v73, v40, v37
	v_add_f16_e32 v44, v44, v73
	;; [unrolled: 3-line block ×4, first 2 shown]
	v_add_f16_e32 v75, v75, v76
	v_add_f16_e32 v76, v35, v37
	v_fma_f16 v78, v78, -0.5, v34
	v_fma_f16 v76, v76, -0.5, v38
	v_fma_f16 v79, v68, s15, v78
	v_fma_f16 v77, v63, s12, v76
	;; [unrolled: 1-line block ×6, first 2 shown]
	s_mov_b32 s17, 0xb4f2
	v_mul_f16_e32 v80, 0xb4f2, v79
	v_mul_f16_e32 v79, 0xbb9c, v79
	v_fma_f16 v80, v77, s15, v80
	v_fma_f16 v77, v77, s17, v79
	v_add_f16_e32 v79, v47, v39
	v_add_f16_e32 v82, v5, v7
	v_fma_f16 v79, v79, -0.5, v58
	v_fma_f16 v82, v82, -0.5, v20
	v_fma_f16 v81, v56, s15, v79
	v_fma_f16 v83, v71, s12, v82
	;; [unrolled: 1-line block ×6, first 2 shown]
	v_sub_f16_e32 v84, v81, v80
	v_sub_f16_e32 v85, v83, v77
	v_mul_f16_e32 v86, v85, v41
	v_mul_f16_e32 v41, v84, v41
	v_fma_f16 v86, v84, v72, -v86
	v_fma_f16 v41, v85, v72, v41
	v_lshrrev_b32_e32 v72, 16, v32
	v_mul_f16_sdwa v84, v72, v33 dst_sel:DWORD dst_unused:UNUSED_PAD src0_sel:DWORD src1_sel:WORD_1
	v_fma_f16 v84, v32, v33, -v84
	v_mul_f16_sdwa v32, v32, v33 dst_sel:DWORD dst_unused:UNUSED_PAD src0_sel:DWORD src1_sel:WORD_1
	v_fma_f16 v32, v72, v33, v32
	v_fma_f16 v33, v56, s12, v79
	;; [unrolled: 1-line block ×11, first 2 shown]
	v_add_f16_e32 v5, v20, v5
	v_fma_f16 v72, v66, s14, v72
	v_mul_f16_e32 v73, 0x34f2, v44
	v_mul_f16_e32 v44, 0xbb9c, v44
	v_add_f16_e32 v5, v5, v53
	v_fma_f16 v72, v75, s13, v72
	v_fma_f16 v73, v42, s15, v73
	;; [unrolled: 1-line block ×3, first 2 shown]
	v_add_f16_e32 v47, v58, v47
	v_add_f16_e32 v5, v5, v9
	v_sub_f16_e32 v75, v72, v42
	v_add_f16_e32 v1, v47, v1
	v_add_f16_e32 v0, v34, v0
	;; [unrolled: 1-line block ×4, first 2 shown]
	v_sub_f16_e32 v44, v33, v73
	v_mul_f16_e32 v76, v75, v32
	v_add_f16_e32 v1, v1, v51
	v_add_f16_e32 v0, v0, v45
	;; [unrolled: 1-line block ×3, first 2 shown]
	v_fma_f16 v76, v44, v84, -v76
	v_mul_f16_e32 v32, v44, v32
	v_lshrrev_b32_e32 v44, 16, v30
	v_add_f16_e32 v1, v1, v39
	v_lshrrev_b32_e32 v39, 16, v28
	v_add_f16_e32 v0, v0, v48
	v_add_f16_e32 v7, v7, v40
	v_fma_f16 v32, v75, v84, v32
	v_mul_f16_sdwa v75, v44, v31 dst_sel:DWORD dst_unused:UNUSED_PAD src0_sel:DWORD src1_sel:WORD_1
	v_lshrrev_b32_e32 v51, 16, v26
	v_add_f16_e32 v0, v0, v36
	v_mul_f16_sdwa v36, v39, v29 dst_sel:DWORD dst_unused:UNUSED_PAD src0_sel:DWORD src1_sel:WORD_1
	v_add_f16_e32 v7, v7, v37
	v_mul_f16_sdwa v20, v28, v29 dst_sel:DWORD dst_unused:UNUSED_PAD src0_sel:DWORD src1_sel:WORD_1
	v_fma_f16 v75, v30, v31, -v75
	v_mul_f16_sdwa v30, v30, v31 dst_sel:DWORD dst_unused:UNUSED_PAD src0_sel:DWORD src1_sel:WORD_1
	v_fma_f16 v36, v28, v29, -v36
	v_sub_f16_e32 v9, v5, v7
	v_fma_f16 v20, v39, v29, v20
	v_mul_f16_sdwa v29, v51, v27 dst_sel:DWORD dst_unused:UNUSED_PAD src0_sel:DWORD src1_sel:WORD_1
	v_fma_f16 v30, v44, v31, v30
	v_fma_f16 v31, v52, s15, v49
	v_sub_f16_e32 v34, v1, v0
	v_mul_f16_e32 v28, v9, v20
	v_fma_f16 v29, v26, v27, -v29
	v_mul_f16_sdwa v26, v26, v27 dst_sel:DWORD dst_unused:UNUSED_PAD src0_sel:DWORD src1_sel:WORD_1
	v_fma_f16 v31, v56, s16, v31
	v_fma_f16 v28, v34, v36, -v28
	v_mul_f16_e32 v20, v34, v20
	v_add_f16_e32 v34, v70, v65
	v_fma_f16 v26, v51, v27, v26
	v_fma_f16 v31, v46, s13, v31
	;; [unrolled: 1-line block ×4, first 2 shown]
	v_add_f16_e32 v20, v64, v69
	v_mul_f16_e32 v27, v34, v26
	v_fma_f16 v44, v61, s12, v57
	v_fma_f16 v46, v68, s16, v46
	v_lshrrev_b32_e32 v47, 16, v24
	v_fma_f16 v27, v20, v29, -v27
	v_mul_f16_e32 v20, v20, v26
	v_fma_f16 v44, v63, s14, v44
	v_fma_f16 v46, v59, s13, v46
	;; [unrolled: 1-line block ×4, first 2 shown]
	v_mul_f16_sdwa v29, v47, v25 dst_sel:DWORD dst_unused:UNUSED_PAD src0_sel:DWORD src1_sel:WORD_1
	v_fma_f16 v44, v50, s13, v44
	s_movk_i32 s12, 0x3a79
	v_fma_f16 v49, v71, s14, v49
	v_mul_f16_e32 v50, 0x3a79, v46
	v_mul_f16_e32 v46, 0xb8b4, v46
	v_fma_f16 v29, v24, v25, -v29
	v_mul_f16_sdwa v24, v24, v25 dst_sel:DWORD dst_unused:UNUSED_PAD src0_sel:DWORD src1_sel:WORD_1
	v_fma_f16 v50, v44, s16, v50
	v_fma_f16 v49, v54, s13, v49
	;; [unrolled: 1-line block ×3, first 2 shown]
	v_add_f16_e32 v26, v81, v80
	v_add_f16_e32 v34, v83, v77
	v_fma_f16 v24, v47, v25, v24
	v_sub_f16_e32 v52, v31, v50
	v_sub_f16_e32 v46, v49, v44
	v_lshrrev_b32_e32 v56, 16, v22
	v_mul_f16_e32 v25, v34, v24
	v_mul_f16_e32 v24, v26, v24
	;; [unrolled: 1-line block ×4, first 2 shown]
	v_fma_f16 v25, v26, v29, -v25
	v_fma_f16 v24, v34, v29, v24
	v_mul_f16_sdwa v29, v56, v23 dst_sel:DWORD dst_unused:UNUSED_PAD src0_sel:DWORD src1_sel:WORD_1
	v_fma_f16 v30, v46, v75, v30
	v_lshrrev_b32_e32 v46, 16, v4
	v_fma_f16 v29, v22, v23, -v29
	v_mul_f16_sdwa v22, v22, v23 dst_sel:DWORD dst_unused:UNUSED_PAD src0_sel:DWORD src1_sel:WORD_1
	v_add_f16_e32 v26, v33, v73
	v_add_f16_e32 v33, v72, v42
	v_fma_f16 v22, v56, v23, v22
	v_add_f16_e32 v0, v1, v0
	v_mul_f16_sdwa v1, v46, v6 dst_sel:DWORD dst_unused:UNUSED_PAD src0_sel:DWORD src1_sel:WORD_1
	v_fma_f16 v54, v52, v75, -v54
	v_lshrrev_b32_e32 v52, 16, v8
	v_mul_f16_e32 v23, v33, v22
	v_mul_f16_e32 v22, v26, v22
	v_fma_f16 v1, v4, v6, -v1
	v_mul_f16_sdwa v4, v4, v6 dst_sel:DWORD dst_unused:UNUSED_PAD src0_sel:DWORD src1_sel:WORD_1
	v_fma_f16 v23, v26, v29, -v23
	v_fma_f16 v22, v33, v29, v22
	v_mul_f16_sdwa v29, v52, v21 dst_sel:DWORD dst_unused:UNUSED_PAD src0_sel:DWORD src1_sel:WORD_1
	v_add_f16_e32 v5, v5, v7
	v_fma_f16 v4, v46, v6, v4
	v_fma_f16 v29, v8, v21, -v29
	v_mul_f16_sdwa v8, v8, v21 dst_sel:DWORD dst_unused:UNUSED_PAD src0_sel:DWORD src1_sel:WORD_1
	v_mul_f16_e32 v6, v5, v4
	v_add_f16_e32 v26, v31, v50
	v_add_f16_e32 v31, v49, v44
	v_fma_f16 v8, v52, v21, v8
	v_fma_f16 v6, v0, v1, -v6
	v_mul_f16_e32 v0, v0, v4
	v_mul_f16_e32 v21, v31, v8
	;; [unrolled: 1-line block ×3, first 2 shown]
	v_fma_f16 v0, v5, v1, v0
	v_fma_f16 v21, v26, v29, -v21
	v_fma_f16 v8, v31, v29, v8
	v_pack_b32_f16 v0, v0, v6
	ds_write_b32 v19, v0
	v_pack_b32_f16 v0, v8, v21
	v_pack_b32_f16 v1, v22, v23
	ds_write2_b32 v18, v0, v1 offset0:6 offset1:12
	v_pack_b32_f16 v0, v24, v25
	v_pack_b32_f16 v1, v20, v27
	ds_write2_b32 v18, v0, v1 offset0:18 offset1:24
	;; [unrolled: 3-line block ×4, first 2 shown]
	v_pack_b32_f16 v0, v43, v74
	ds_write_b32 v18, v0 offset:216
.LBB0_17:
	s_or_b64 exec, exec, s[8:9]
	s_waitcnt lgkmcnt(0)
	s_barrier
	s_and_saveexec_b64 s[8:9], s[0:1]
	s_cbranch_execz .LBB0_19
; %bb.18:
	s_mul_i32 s0, s3, s24
	s_mul_hi_u32 s1, s2, s24
	s_add_i32 s1, s1, s0
	s_mul_i32 s0, s2, s24
	v_mad_u64_u32 v[0:1], s[2:3], s6, v15, 0
	s_waitcnt vmcnt(19)
	v_mov_b32_e32 v4, v1
	v_mad_u64_u32 v[4:5], s[2:3], s7, v15, v[4:5]
	v_mov_b32_e32 v1, v4
	v_mad_u64_u32 v[4:5], s[2:3], s4, v16, 0
	s_waitcnt vmcnt(18)
	v_mov_b32_e32 v6, v5
	v_mad_u64_u32 v[6:7], s[2:3], s5, v16, v[6:7]
	v_mov_b32_e32 v5, v6
	v_mul_u32_u24_e32 v6, 0xf0, v15
	s_waitcnt vmcnt(17)
	v_add3_u32 v8, 0, v6, v17
	s_lshl_b64 s[0:1], s[0:1], 2
	s_add_u32 s0, s10, s0
	ds_read2_b32 v[6:7], v8 offset1:10
	s_addc_u32 s1, s11, s1
	v_lshlrev_b64 v[2:3], 2, v[2:3]
	v_lshl_add_u64 v[2:3], s[0:1], 0, v[2:3]
	v_lshl_add_u64 v[0:1], v[0:1], 2, v[2:3]
	;; [unrolled: 1-line block ×3, first 2 shown]
	s_waitcnt lgkmcnt(0)
	global_store_dword v[2:3], v6, off
	v_mad_u64_u32 v[2:3], s[0:1], s4, v14, 0
	v_mov_b32_e32 v4, v3
	v_mad_u64_u32 v[4:5], s[0:1], s5, v14, v[4:5]
	v_mov_b32_e32 v3, v4
	v_lshl_add_u64 v[2:3], v[2:3], 2, v[0:1]
	global_store_dword v[2:3], v7, off
	v_mad_u64_u32 v[2:3], s[0:1], s4, v13, 0
	ds_read2_b32 v[6:7], v8 offset0:20 offset1:30
	v_mov_b32_e32 v4, v3
	v_mad_u64_u32 v[4:5], s[0:1], s5, v13, v[4:5]
	v_mov_b32_e32 v3, v4
	v_lshl_add_u64 v[2:3], v[2:3], 2, v[0:1]
	s_waitcnt lgkmcnt(0)
	global_store_dword v[2:3], v6, off
	v_mad_u64_u32 v[2:3], s[0:1], s4, v12, 0
	v_mov_b32_e32 v4, v3
	v_mad_u64_u32 v[4:5], s[0:1], s5, v12, v[4:5]
	v_mov_b32_e32 v3, v4
	v_lshl_add_u64 v[2:3], v[2:3], 2, v[0:1]
	global_store_dword v[2:3], v7, off
	v_mad_u64_u32 v[2:3], s[0:1], s4, v11, 0
	ds_read2_b32 v[6:7], v8 offset0:40 offset1:50
	v_mov_b32_e32 v4, v3
	v_mad_u64_u32 v[4:5], s[0:1], s5, v11, v[4:5]
	v_mov_b32_e32 v3, v4
	v_lshl_add_u64 v[2:3], v[2:3], 2, v[0:1]
	s_waitcnt lgkmcnt(0)
	global_store_dword v[2:3], v6, off
	v_mad_u64_u32 v[2:3], s[0:1], s4, v10, 0
	v_mov_b32_e32 v4, v3
	v_mad_u64_u32 v[4:5], s[0:1], s5, v10, v[4:5]
	v_mov_b32_e32 v3, v4
	v_lshl_add_u64 v[0:1], v[2:3], 2, v[0:1]
	global_store_dword v[0:1], v7, off
.LBB0_19:
	s_endpgm
	.section	.rodata,"a",@progbits
	.p2align	6, 0x0
	.amdhsa_kernel fft_rtc_back_len60_factors_6_10_wgs_160_tpt_10_half_op_CI_CI_sbcc_twdbase8_2step
		.amdhsa_group_segment_fixed_size 0
		.amdhsa_private_segment_fixed_size 0
		.amdhsa_kernarg_size 112
		.amdhsa_user_sgpr_count 2
		.amdhsa_user_sgpr_dispatch_ptr 0
		.amdhsa_user_sgpr_queue_ptr 0
		.amdhsa_user_sgpr_kernarg_segment_ptr 1
		.amdhsa_user_sgpr_dispatch_id 0
		.amdhsa_user_sgpr_kernarg_preload_length 0
		.amdhsa_user_sgpr_kernarg_preload_offset 0
		.amdhsa_user_sgpr_private_segment_size 0
		.amdhsa_uses_dynamic_stack 0
		.amdhsa_enable_private_segment 0
		.amdhsa_system_sgpr_workgroup_id_x 1
		.amdhsa_system_sgpr_workgroup_id_y 0
		.amdhsa_system_sgpr_workgroup_id_z 0
		.amdhsa_system_sgpr_workgroup_info 0
		.amdhsa_system_vgpr_workitem_id 0
		.amdhsa_next_free_vgpr 87
		.amdhsa_next_free_sgpr 53
		.amdhsa_accum_offset 88
		.amdhsa_reserve_vcc 1
		.amdhsa_float_round_mode_32 0
		.amdhsa_float_round_mode_16_64 0
		.amdhsa_float_denorm_mode_32 3
		.amdhsa_float_denorm_mode_16_64 3
		.amdhsa_dx10_clamp 1
		.amdhsa_ieee_mode 1
		.amdhsa_fp16_overflow 0
		.amdhsa_tg_split 0
		.amdhsa_exception_fp_ieee_invalid_op 0
		.amdhsa_exception_fp_denorm_src 0
		.amdhsa_exception_fp_ieee_div_zero 0
		.amdhsa_exception_fp_ieee_overflow 0
		.amdhsa_exception_fp_ieee_underflow 0
		.amdhsa_exception_fp_ieee_inexact 0
		.amdhsa_exception_int_div_zero 0
	.end_amdhsa_kernel
	.text
.Lfunc_end0:
	.size	fft_rtc_back_len60_factors_6_10_wgs_160_tpt_10_half_op_CI_CI_sbcc_twdbase8_2step, .Lfunc_end0-fft_rtc_back_len60_factors_6_10_wgs_160_tpt_10_half_op_CI_CI_sbcc_twdbase8_2step
                                        ; -- End function
	.section	.AMDGPU.csdata,"",@progbits
; Kernel info:
; codeLenInByte = 5340
; NumSgprs: 59
; NumVgprs: 87
; NumAgprs: 0
; TotalNumVgprs: 87
; ScratchSize: 0
; MemoryBound: 0
; FloatMode: 240
; IeeeMode: 1
; LDSByteSize: 0 bytes/workgroup (compile time only)
; SGPRBlocks: 7
; VGPRBlocks: 10
; NumSGPRsForWavesPerEU: 59
; NumVGPRsForWavesPerEU: 87
; AccumOffset: 88
; Occupancy: 5
; WaveLimiterHint : 1
; COMPUTE_PGM_RSRC2:SCRATCH_EN: 0
; COMPUTE_PGM_RSRC2:USER_SGPR: 2
; COMPUTE_PGM_RSRC2:TRAP_HANDLER: 0
; COMPUTE_PGM_RSRC2:TGID_X_EN: 1
; COMPUTE_PGM_RSRC2:TGID_Y_EN: 0
; COMPUTE_PGM_RSRC2:TGID_Z_EN: 0
; COMPUTE_PGM_RSRC2:TIDIG_COMP_CNT: 0
; COMPUTE_PGM_RSRC3_GFX90A:ACCUM_OFFSET: 21
; COMPUTE_PGM_RSRC3_GFX90A:TG_SPLIT: 0
	.text
	.p2alignl 6, 3212836864
	.fill 256, 4, 3212836864
	.type	__hip_cuid_f2266bfb4e4bb41f,@object ; @__hip_cuid_f2266bfb4e4bb41f
	.section	.bss,"aw",@nobits
	.globl	__hip_cuid_f2266bfb4e4bb41f
__hip_cuid_f2266bfb4e4bb41f:
	.byte	0                               ; 0x0
	.size	__hip_cuid_f2266bfb4e4bb41f, 1

	.ident	"AMD clang version 19.0.0git (https://github.com/RadeonOpenCompute/llvm-project roc-6.4.0 25133 c7fe45cf4b819c5991fe208aaa96edf142730f1d)"
	.section	".note.GNU-stack","",@progbits
	.addrsig
	.addrsig_sym __hip_cuid_f2266bfb4e4bb41f
	.amdgpu_metadata
---
amdhsa.kernels:
  - .agpr_count:     0
    .args:
      - .actual_access:  read_only
        .address_space:  global
        .offset:         0
        .size:           8
        .value_kind:     global_buffer
      - .address_space:  global
        .offset:         8
        .size:           8
        .value_kind:     global_buffer
      - .offset:         16
        .size:           8
        .value_kind:     by_value
      - .actual_access:  read_only
        .address_space:  global
        .offset:         24
        .size:           8
        .value_kind:     global_buffer
      - .actual_access:  read_only
        .address_space:  global
        .offset:         32
        .size:           8
        .value_kind:     global_buffer
      - .actual_access:  read_only
        .address_space:  global
        .offset:         40
        .size:           8
        .value_kind:     global_buffer
      - .offset:         48
        .size:           8
        .value_kind:     by_value
      - .actual_access:  read_only
        .address_space:  global
        .offset:         56
        .size:           8
        .value_kind:     global_buffer
      - .actual_access:  read_only
        .address_space:  global
        .offset:         64
        .size:           8
        .value_kind:     global_buffer
      - .offset:         72
        .size:           4
        .value_kind:     by_value
      - .actual_access:  read_only
        .address_space:  global
        .offset:         80
        .size:           8
        .value_kind:     global_buffer
      - .actual_access:  read_only
        .address_space:  global
        .offset:         88
        .size:           8
        .value_kind:     global_buffer
      - .actual_access:  read_only
        .address_space:  global
        .offset:         96
        .size:           8
        .value_kind:     global_buffer
      - .actual_access:  write_only
        .address_space:  global
        .offset:         104
        .size:           8
        .value_kind:     global_buffer
    .group_segment_fixed_size: 0
    .kernarg_segment_align: 8
    .kernarg_segment_size: 112
    .language:       OpenCL C
    .language_version:
      - 2
      - 0
    .max_flat_workgroup_size: 160
    .name:           fft_rtc_back_len60_factors_6_10_wgs_160_tpt_10_half_op_CI_CI_sbcc_twdbase8_2step
    .private_segment_fixed_size: 0
    .sgpr_count:     59
    .sgpr_spill_count: 0
    .symbol:         fft_rtc_back_len60_factors_6_10_wgs_160_tpt_10_half_op_CI_CI_sbcc_twdbase8_2step.kd
    .uniform_work_group_size: 1
    .uses_dynamic_stack: false
    .vgpr_count:     87
    .vgpr_spill_count: 0
    .wavefront_size: 64
amdhsa.target:   amdgcn-amd-amdhsa--gfx950
amdhsa.version:
  - 1
  - 2
...

	.end_amdgpu_metadata
